;; amdgpu-corpus repo=ROCm/bitsandbytes kind=harvested arch=n/a opt=n/a
	.text
	.amdgcn_target "amdgcn-amd-amdhsa--gfx1100"
	.amdhsa_code_object_version 6
	.protected	_Z11kDequantizePfPhS_i  ; -- Begin function _Z11kDequantizePfPhS_i
	.globl	_Z11kDequantizePfPhS_i
	.p2align	8
	.type	_Z11kDequantizePfPhS_i,@function
_Z11kDequantizePfPhS_i:                 ; @_Z11kDequantizePfPhS_i
; %bb.0:
	s_clause 0x2
	s_load_b128 s[4:7], s[0:1], 0x0
	s_load_b64 s[2:3], s[0:1], 0x10
	s_load_b32 s8, s[0:1], 0x2c
	s_mov_b32 s9, exec_lo
	v_cmpx_gt_u32_e32 0x100, v0
	s_cbranch_execz .LBB1_2
; %bb.1:
	v_lshlrev_b32_e32 v1, 2, v0
	s_waitcnt lgkmcnt(0)
	global_load_b32 v2, v1, s[4:5]
	s_waitcnt vmcnt(0)
	ds_store_b32 v1, v2
.LBB1_2:
	s_or_b32 exec_lo, exec_lo, s9
	s_waitcnt lgkmcnt(0)
	s_load_b32 s4, s[0:1], 0x18
	s_and_b32 s5, 0xffff, s8
	s_waitcnt lgkmcnt(0)
	v_mad_u64_u32 v[1:2], null, s15, s5, v[0:1]
	s_barrier
	buffer_gl0_inv
	s_mov_b32 s8, exec_lo
	v_cmpx_gt_i32_e64 s4, v1
	s_cbranch_execz .LBB1_5
; %bb.3:
	s_load_b32 s1, s[0:1], 0x20
	s_waitcnt lgkmcnt(0)
	s_mul_i32 s1, s1, s5
	s_mov_b32 s5, 0
	.p2align	6
.LBB1_4:                                ; =>This Inner Loop Header: Depth=1
	v_ashrrev_i32_e32 v2, 31, v1
	v_add_co_u32 v3, vcc_lo, s6, v1
	s_delay_alu instid0(VALU_DEP_2) | instskip(SKIP_3) | instid1(VALU_DEP_1)
	v_add_co_ci_u32_e32 v4, vcc_lo, s7, v2, vcc_lo
	global_load_u8 v0, v[3:4], off
	v_lshlrev_b64 v[2:3], 2, v[1:2]
	v_add_nc_u32_e32 v1, s1, v1
	v_cmp_le_i32_e32 vcc_lo, s4, v1
	s_delay_alu instid0(VALU_DEP_3) | instskip(NEXT) | instid1(VALU_DEP_1)
	v_add_co_u32 v2, s0, s2, v2
	v_add_co_ci_u32_e64 v3, s0, s3, v3, s0
	s_or_b32 s5, vcc_lo, s5
	s_waitcnt vmcnt(0)
	v_lshlrev_b32_e32 v0, 2, v0
	ds_load_b32 v0, v0
	s_waitcnt lgkmcnt(0)
	global_store_b32 v[2:3], v0, off
	s_and_not1_b32 exec_lo, exec_lo, s5
	s_cbranch_execnz .LBB1_4
.LBB1_5:
	s_nop 0
	s_sendmsg sendmsg(MSG_DEALLOC_VGPRS)
	s_endpgm
	.section	.rodata,"a",@progbits
	.p2align	6, 0x0
	.amdhsa_kernel _Z11kDequantizePfPhS_i
		.amdhsa_group_segment_fixed_size 1024
		.amdhsa_private_segment_fixed_size 0
		.amdhsa_kernarg_size 288
		.amdhsa_user_sgpr_count 15
		.amdhsa_user_sgpr_dispatch_ptr 0
		.amdhsa_user_sgpr_queue_ptr 0
		.amdhsa_user_sgpr_kernarg_segment_ptr 1
		.amdhsa_user_sgpr_dispatch_id 0
		.amdhsa_user_sgpr_private_segment_size 0
		.amdhsa_wavefront_size32 1
		.amdhsa_uses_dynamic_stack 0
		.amdhsa_enable_private_segment 0
		.amdhsa_system_sgpr_workgroup_id_x 1
		.amdhsa_system_sgpr_workgroup_id_y 0
		.amdhsa_system_sgpr_workgroup_id_z 0
		.amdhsa_system_sgpr_workgroup_info 0
		.amdhsa_system_vgpr_workitem_id 0
		.amdhsa_next_free_vgpr 5
		.amdhsa_next_free_sgpr 16
		.amdhsa_reserve_vcc 1
		.amdhsa_float_round_mode_32 0
		.amdhsa_float_round_mode_16_64 0
		.amdhsa_float_denorm_mode_32 3
		.amdhsa_float_denorm_mode_16_64 3
		.amdhsa_dx10_clamp 1
		.amdhsa_ieee_mode 1
		.amdhsa_fp16_overflow 0
		.amdhsa_workgroup_processor_mode 1
		.amdhsa_memory_ordered 1
		.amdhsa_forward_progress 0
		.amdhsa_shared_vgpr_count 0
		.amdhsa_exception_fp_ieee_invalid_op 0
		.amdhsa_exception_fp_denorm_src 0
		.amdhsa_exception_fp_ieee_div_zero 0
		.amdhsa_exception_fp_ieee_overflow 0
		.amdhsa_exception_fp_ieee_underflow 0
		.amdhsa_exception_fp_ieee_inexact 0
		.amdhsa_exception_int_div_zero 0
	.end_amdhsa_kernel
	.text
.Lfunc_end1:
	.size	_Z11kDequantizePfPhS_i, .Lfunc_end1-_Z11kDequantizePfPhS_i
                                        ; -- End function
	.section	.AMDGPU.csdata,"",@progbits
; Kernel info:
; codeLenInByte = 272
; NumSgprs: 18
; NumVgprs: 5
; ScratchSize: 0
; MemoryBound: 0
; FloatMode: 240
; IeeeMode: 1
; LDSByteSize: 1024 bytes/workgroup (compile time only)
; SGPRBlocks: 2
; VGPRBlocks: 0
; NumSGPRsForWavesPerEU: 18
; NumVGPRsForWavesPerEU: 5
; Occupancy: 16
; WaveLimiterHint : 0
; COMPUTE_PGM_RSRC2:SCRATCH_EN: 0
; COMPUTE_PGM_RSRC2:USER_SGPR: 15
; COMPUTE_PGM_RSRC2:TRAP_HANDLER: 0
; COMPUTE_PGM_RSRC2:TGID_X_EN: 1
; COMPUTE_PGM_RSRC2:TGID_Y_EN: 0
; COMPUTE_PGM_RSRC2:TGID_Z_EN: 0
; COMPUTE_PGM_RSRC2:TIDIG_COMP_CNT: 0
	.section	.text._Z12kgetRowStatsI6__halfLi1024ELi0EEvPT_Pffii,"axG",@progbits,_Z12kgetRowStatsI6__halfLi1024ELi0EEvPT_Pffii,comdat
